;; amdgpu-corpus repo=ROCm/rocFFT kind=compiled arch=gfx1030 opt=O3
	.text
	.amdgcn_target "amdgcn-amd-amdhsa--gfx1030"
	.amdhsa_code_object_version 6
	.protected	fft_rtc_fwd_len624_factors_13_4_6_2_wgs_52_tpt_52_half_ip_CI_sbrr_dirReg ; -- Begin function fft_rtc_fwd_len624_factors_13_4_6_2_wgs_52_tpt_52_half_ip_CI_sbrr_dirReg
	.globl	fft_rtc_fwd_len624_factors_13_4_6_2_wgs_52_tpt_52_half_ip_CI_sbrr_dirReg
	.p2align	8
	.type	fft_rtc_fwd_len624_factors_13_4_6_2_wgs_52_tpt_52_half_ip_CI_sbrr_dirReg,@function
fft_rtc_fwd_len624_factors_13_4_6_2_wgs_52_tpt_52_half_ip_CI_sbrr_dirReg: ; @fft_rtc_fwd_len624_factors_13_4_6_2_wgs_52_tpt_52_half_ip_CI_sbrr_dirReg
; %bb.0:
	s_clause 0x2
	s_load_dwordx2 s[14:15], s[4:5], 0x18
	s_load_dwordx4 s[8:11], s[4:5], 0x0
	s_load_dwordx2 s[12:13], s[4:5], 0x50
	v_mul_u32_u24_e32 v1, 0x4ed, v0
	v_mov_b32_e32 v3, 0
	v_add_nc_u32_sdwa v5, s6, v1 dst_sel:DWORD dst_unused:UNUSED_PAD src0_sel:DWORD src1_sel:WORD_1
	v_mov_b32_e32 v1, 0
	v_mov_b32_e32 v6, v3
	v_mov_b32_e32 v2, 0
	s_waitcnt lgkmcnt(0)
	s_load_dwordx2 s[2:3], s[14:15], 0x0
	v_cmp_lt_u64_e64 s0, s[10:11], 2
	s_and_b32 vcc_lo, exec_lo, s0
	s_cbranch_vccnz .LBB0_8
; %bb.1:
	s_load_dwordx2 s[0:1], s[4:5], 0x10
	v_mov_b32_e32 v1, 0
	s_add_u32 s6, s14, 8
	v_mov_b32_e32 v2, 0
	s_addc_u32 s7, s15, 0
	s_mov_b64 s[18:19], 1
	s_waitcnt lgkmcnt(0)
	s_add_u32 s16, s0, 8
	s_addc_u32 s17, s1, 0
.LBB0_2:                                ; =>This Inner Loop Header: Depth=1
	s_load_dwordx2 s[20:21], s[16:17], 0x0
                                        ; implicit-def: $vgpr7_vgpr8
	s_mov_b32 s0, exec_lo
	s_waitcnt lgkmcnt(0)
	v_or_b32_e32 v4, s21, v6
	v_cmpx_ne_u64_e32 0, v[3:4]
	s_xor_b32 s1, exec_lo, s0
	s_cbranch_execz .LBB0_4
; %bb.3:                                ;   in Loop: Header=BB0_2 Depth=1
	v_cvt_f32_u32_e32 v4, s20
	v_cvt_f32_u32_e32 v7, s21
	s_sub_u32 s0, 0, s20
	s_subb_u32 s22, 0, s21
	v_fmac_f32_e32 v4, 0x4f800000, v7
	v_rcp_f32_e32 v4, v4
	v_mul_f32_e32 v4, 0x5f7ffffc, v4
	v_mul_f32_e32 v7, 0x2f800000, v4
	v_trunc_f32_e32 v7, v7
	v_fmac_f32_e32 v4, 0xcf800000, v7
	v_cvt_u32_f32_e32 v7, v7
	v_cvt_u32_f32_e32 v4, v4
	v_mul_lo_u32 v8, s0, v7
	v_mul_hi_u32 v9, s0, v4
	v_mul_lo_u32 v10, s22, v4
	v_add_nc_u32_e32 v8, v9, v8
	v_mul_lo_u32 v9, s0, v4
	v_add_nc_u32_e32 v8, v8, v10
	v_mul_hi_u32 v10, v4, v9
	v_mul_lo_u32 v11, v4, v8
	v_mul_hi_u32 v12, v4, v8
	v_mul_hi_u32 v13, v7, v9
	v_mul_lo_u32 v9, v7, v9
	v_mul_hi_u32 v14, v7, v8
	v_mul_lo_u32 v8, v7, v8
	v_add_co_u32 v10, vcc_lo, v10, v11
	v_add_co_ci_u32_e32 v11, vcc_lo, 0, v12, vcc_lo
	v_add_co_u32 v9, vcc_lo, v10, v9
	v_add_co_ci_u32_e32 v9, vcc_lo, v11, v13, vcc_lo
	v_add_co_ci_u32_e32 v10, vcc_lo, 0, v14, vcc_lo
	v_add_co_u32 v8, vcc_lo, v9, v8
	v_add_co_ci_u32_e32 v9, vcc_lo, 0, v10, vcc_lo
	v_add_co_u32 v4, vcc_lo, v4, v8
	v_add_co_ci_u32_e32 v7, vcc_lo, v7, v9, vcc_lo
	v_mul_hi_u32 v8, s0, v4
	v_mul_lo_u32 v10, s22, v4
	v_mul_lo_u32 v9, s0, v7
	v_add_nc_u32_e32 v8, v8, v9
	v_mul_lo_u32 v9, s0, v4
	v_add_nc_u32_e32 v8, v8, v10
	v_mul_hi_u32 v10, v4, v9
	v_mul_lo_u32 v11, v4, v8
	v_mul_hi_u32 v12, v4, v8
	v_mul_hi_u32 v13, v7, v9
	v_mul_lo_u32 v9, v7, v9
	v_mul_hi_u32 v14, v7, v8
	v_mul_lo_u32 v8, v7, v8
	v_add_co_u32 v10, vcc_lo, v10, v11
	v_add_co_ci_u32_e32 v11, vcc_lo, 0, v12, vcc_lo
	v_add_co_u32 v9, vcc_lo, v10, v9
	v_add_co_ci_u32_e32 v9, vcc_lo, v11, v13, vcc_lo
	v_add_co_ci_u32_e32 v10, vcc_lo, 0, v14, vcc_lo
	v_add_co_u32 v8, vcc_lo, v9, v8
	v_add_co_ci_u32_e32 v9, vcc_lo, 0, v10, vcc_lo
	v_add_co_u32 v4, vcc_lo, v4, v8
	v_add_co_ci_u32_e32 v11, vcc_lo, v7, v9, vcc_lo
	v_mul_hi_u32 v13, v5, v4
	v_mad_u64_u32 v[9:10], null, v6, v4, 0
	v_mad_u64_u32 v[7:8], null, v5, v11, 0
	;; [unrolled: 1-line block ×3, first 2 shown]
	v_add_co_u32 v4, vcc_lo, v13, v7
	v_add_co_ci_u32_e32 v7, vcc_lo, 0, v8, vcc_lo
	v_add_co_u32 v4, vcc_lo, v4, v9
	v_add_co_ci_u32_e32 v4, vcc_lo, v7, v10, vcc_lo
	v_add_co_ci_u32_e32 v7, vcc_lo, 0, v12, vcc_lo
	v_add_co_u32 v4, vcc_lo, v4, v11
	v_add_co_ci_u32_e32 v9, vcc_lo, 0, v7, vcc_lo
	v_mul_lo_u32 v10, s21, v4
	v_mad_u64_u32 v[7:8], null, s20, v4, 0
	v_mul_lo_u32 v11, s20, v9
	v_sub_co_u32 v7, vcc_lo, v5, v7
	v_add3_u32 v8, v8, v11, v10
	v_sub_nc_u32_e32 v10, v6, v8
	v_subrev_co_ci_u32_e64 v10, s0, s21, v10, vcc_lo
	v_add_co_u32 v11, s0, v4, 2
	v_add_co_ci_u32_e64 v12, s0, 0, v9, s0
	v_sub_co_u32 v13, s0, v7, s20
	v_sub_co_ci_u32_e32 v8, vcc_lo, v6, v8, vcc_lo
	v_subrev_co_ci_u32_e64 v10, s0, 0, v10, s0
	v_cmp_le_u32_e32 vcc_lo, s20, v13
	v_cmp_eq_u32_e64 s0, s21, v8
	v_cndmask_b32_e64 v13, 0, -1, vcc_lo
	v_cmp_le_u32_e32 vcc_lo, s21, v10
	v_cndmask_b32_e64 v14, 0, -1, vcc_lo
	v_cmp_le_u32_e32 vcc_lo, s20, v7
	;; [unrolled: 2-line block ×3, first 2 shown]
	v_cndmask_b32_e64 v15, 0, -1, vcc_lo
	v_cmp_eq_u32_e32 vcc_lo, s21, v10
	v_cndmask_b32_e64 v7, v15, v7, s0
	v_cndmask_b32_e32 v10, v14, v13, vcc_lo
	v_add_co_u32 v13, vcc_lo, v4, 1
	v_add_co_ci_u32_e32 v14, vcc_lo, 0, v9, vcc_lo
	v_cmp_ne_u32_e32 vcc_lo, 0, v10
	v_cndmask_b32_e32 v8, v14, v12, vcc_lo
	v_cndmask_b32_e32 v10, v13, v11, vcc_lo
	v_cmp_ne_u32_e32 vcc_lo, 0, v7
	v_cndmask_b32_e32 v8, v9, v8, vcc_lo
	v_cndmask_b32_e32 v7, v4, v10, vcc_lo
.LBB0_4:                                ;   in Loop: Header=BB0_2 Depth=1
	s_andn2_saveexec_b32 s0, s1
	s_cbranch_execz .LBB0_6
; %bb.5:                                ;   in Loop: Header=BB0_2 Depth=1
	v_cvt_f32_u32_e32 v4, s20
	s_sub_i32 s1, 0, s20
	v_rcp_iflag_f32_e32 v4, v4
	v_mul_f32_e32 v4, 0x4f7ffffe, v4
	v_cvt_u32_f32_e32 v4, v4
	v_mul_lo_u32 v7, s1, v4
	v_mul_hi_u32 v7, v4, v7
	v_add_nc_u32_e32 v4, v4, v7
	v_mul_hi_u32 v4, v5, v4
	v_mul_lo_u32 v7, v4, s20
	v_add_nc_u32_e32 v8, 1, v4
	v_sub_nc_u32_e32 v7, v5, v7
	v_subrev_nc_u32_e32 v9, s20, v7
	v_cmp_le_u32_e32 vcc_lo, s20, v7
	v_cndmask_b32_e32 v7, v7, v9, vcc_lo
	v_cndmask_b32_e32 v4, v4, v8, vcc_lo
	v_cmp_le_u32_e32 vcc_lo, s20, v7
	v_add_nc_u32_e32 v8, 1, v4
	v_cndmask_b32_e32 v7, v4, v8, vcc_lo
	v_mov_b32_e32 v8, v3
.LBB0_6:                                ;   in Loop: Header=BB0_2 Depth=1
	s_or_b32 exec_lo, exec_lo, s0
	s_load_dwordx2 s[0:1], s[6:7], 0x0
	v_mul_lo_u32 v4, v8, s20
	v_mul_lo_u32 v11, v7, s21
	v_mad_u64_u32 v[9:10], null, v7, s20, 0
	s_add_u32 s18, s18, 1
	s_addc_u32 s19, s19, 0
	s_add_u32 s6, s6, 8
	s_addc_u32 s7, s7, 0
	;; [unrolled: 2-line block ×3, first 2 shown]
	v_add3_u32 v4, v10, v11, v4
	v_sub_co_u32 v5, vcc_lo, v5, v9
	v_sub_co_ci_u32_e32 v4, vcc_lo, v6, v4, vcc_lo
	s_waitcnt lgkmcnt(0)
	v_mul_lo_u32 v6, s1, v5
	v_mul_lo_u32 v4, s0, v4
	v_mad_u64_u32 v[1:2], null, s0, v5, v[1:2]
	v_cmp_ge_u64_e64 s0, s[18:19], s[10:11]
	s_and_b32 vcc_lo, exec_lo, s0
	v_add3_u32 v2, v6, v2, v4
	s_cbranch_vccnz .LBB0_9
; %bb.7:                                ;   in Loop: Header=BB0_2 Depth=1
	v_mov_b32_e32 v5, v7
	v_mov_b32_e32 v6, v8
	s_branch .LBB0_2
.LBB0_8:
	v_mov_b32_e32 v8, v6
	v_mov_b32_e32 v7, v5
.LBB0_9:
	s_lshl_b64 s[0:1], s[10:11], 3
	v_mul_hi_u32 v3, 0x4ec4ec5, v0
	s_add_u32 s0, s14, s0
	s_addc_u32 s1, s15, s1
                                        ; implicit-def: $vgpr28
                                        ; implicit-def: $vgpr17
                                        ; implicit-def: $vgpr27
                                        ; implicit-def: $vgpr15
                                        ; implicit-def: $vgpr26
                                        ; implicit-def: $vgpr12
                                        ; implicit-def: $vgpr25
                                        ; implicit-def: $vgpr24
                                        ; implicit-def: $vgpr6
                                        ; implicit-def: $vgpr23
                                        ; implicit-def: $vgpr22
                                        ; implicit-def: $vgpr21
                                        ; implicit-def: $vgpr14
                                        ; implicit-def: $vgpr20
                                        ; implicit-def: $vgpr13
                                        ; implicit-def: $vgpr19
                                        ; implicit-def: $vgpr11
                                        ; implicit-def: $vgpr18
                                        ; implicit-def: $vgpr9
                                        ; implicit-def: $vgpr16
                                        ; implicit-def: $vgpr10
	s_load_dwordx2 s[0:1], s[0:1], 0x0
	s_load_dwordx2 s[4:5], s[4:5], 0x20
	v_mul_u32_u24_e32 v3, 52, v3
	v_sub_nc_u32_e32 v0, v0, v3
	s_waitcnt lgkmcnt(0)
	v_mul_lo_u32 v4, s0, v8
	v_mul_lo_u32 v5, s1, v7
	v_mad_u64_u32 v[1:2], null, s0, v7, v[1:2]
	v_cmp_gt_u64_e32 vcc_lo, s[4:5], v[7:8]
	v_cmp_gt_u32_e64 s0, 48, v0
	v_mov_b32_e32 v8, 0
                                        ; implicit-def: $vgpr7
	s_and_b32 s1, vcc_lo, s0
	v_add3_u32 v2, v5, v2, v4
                                        ; implicit-def: $vgpr5
                                        ; implicit-def: $vgpr4
	v_lshlrev_b64 v[2:3], 2, v[1:2]
	v_mov_b32_e32 v1, 0
	s_and_saveexec_b32 s4, s1
	s_cbranch_execz .LBB0_11
; %bb.10:
	v_mad_u64_u32 v[4:5], null, s2, v0, 0
	v_add_nc_u32_e32 v11, 48, v0
	v_add_nc_u32_e32 v13, 0x60, v0
	v_or_b32_e32 v16, 0xc0, v0
	v_add_nc_u32_e32 v20, 0xf0, v0
	v_add_nc_u32_e32 v22, 0x120, v0
	v_mad_u64_u32 v[6:7], null, s2, v11, 0
	v_mov_b32_e32 v1, v5
	v_add_nc_u32_e32 v23, 0x150, v0
	v_add_co_u32 v36, s1, s12, v2
	v_add_co_ci_u32_e64 v37, s1, s13, v3, s1
	v_mad_u64_u32 v[8:9], null, s3, v0, v[1:2]
	v_mov_b32_e32 v1, v7
	v_mad_u64_u32 v[9:10], null, s2, v13, 0
	v_mad_u64_u32 v[18:19], null, s2, v23, 0
	;; [unrolled: 1-line block ×3, first 2 shown]
	v_mov_b32_e32 v5, v8
	v_add_nc_u32_e32 v8, 0x90, v0
	v_mov_b32_e32 v1, v10
	v_or_b32_e32 v27, 0x180, v0
	v_add_nc_u32_e32 v31, 0x1e0, v0
	v_lshlrev_b64 v[4:5], 2, v[4:5]
	v_mov_b32_e32 v7, v11
	v_mad_u64_u32 v[11:12], null, s2, v8, 0
	v_mad_u64_u32 v[13:14], null, s3, v13, v[1:2]
	;; [unrolled: 1-line block ×3, first 2 shown]
	v_lshlrev_b64 v[6:7], 2, v[6:7]
	v_add_co_u32 v4, s1, v36, v4
	v_mov_b32_e32 v1, v12
	v_mov_b32_e32 v10, v13
	v_add_co_ci_u32_e64 v5, s1, v37, v5, s1
	v_add_co_u32 v6, s1, v36, v6
	v_mad_u64_u32 v[12:13], null, s3, v8, v[1:2]
	v_mov_b32_e32 v1, v15
	v_lshlrev_b64 v[8:9], 2, v[9:10]
	v_add_co_ci_u32_e64 v7, s1, v37, v7, s1
	v_or_b32_e32 v38, 0x240, v0
	v_mad_u64_u32 v[15:16], null, s3, v16, v[1:2]
	v_mad_u64_u32 v[16:17], null, s2, v20, 0
	v_lshlrev_b64 v[10:11], 2, v[11:12]
	v_mad_u64_u32 v[12:13], null, s2, v22, 0
	v_add_co_u32 v8, s1, v36, v8
	v_add_co_ci_u32_e64 v9, s1, v37, v9, s1
	v_mov_b32_e32 v1, v17
	v_add_co_u32 v10, s1, v36, v10
	v_add_co_ci_u32_e64 v11, s1, v37, v11, s1
	v_mad_u64_u32 v[20:21], null, s3, v20, v[1:2]
	v_mov_b32_e32 v1, v13
	v_lshlrev_b64 v[13:14], 2, v[14:15]
	v_mov_b32_e32 v15, v19
	v_mad_u64_u32 v[34:35], null, s2, v38, 0
	v_mov_b32_e32 v17, v20
	v_mad_u64_u32 v[19:20], null, s3, v22, v[1:2]
	v_mad_u64_u32 v[20:21], null, s3, v23, v[15:16]
	v_add_co_u32 v21, s1, v36, v13
	v_mad_u64_u32 v[23:24], null, s2, v27, 0
	v_add_co_ci_u32_e64 v22, s1, v37, v14, s1
	v_lshlrev_b64 v[14:15], 2, v[16:17]
	v_mov_b32_e32 v13, v19
	v_mov_b32_e32 v19, v20
	v_add_nc_u32_e32 v20, 0x1b0, v0
	v_mov_b32_e32 v1, v24
	v_add_co_u32 v25, s1, v36, v14
	v_add_co_ci_u32_e64 v26, s1, v37, v15, s1
	v_lshlrev_b64 v[14:15], 2, v[18:19]
	v_mad_u64_u32 v[18:19], null, s2, v20, 0
	v_lshlrev_b64 v[12:13], 2, v[12:13]
	v_mad_u64_u32 v[16:17], null, s3, v27, v[1:2]
	v_mad_u64_u32 v[27:28], null, s2, v31, 0
	v_mov_b32_e32 v1, v19
	v_add_co_u32 v29, s1, v36, v12
	v_add_co_ci_u32_e64 v30, s1, v37, v13, s1
	v_add_co_u32 v13, s1, v36, v14
	v_mov_b32_e32 v12, v28
	v_mov_b32_e32 v24, v16
	v_mad_u64_u32 v[16:17], null, s3, v20, v[1:2]
	v_add_nc_u32_e32 v20, 0x210, v0
	v_mad_u64_u32 v[31:32], null, s3, v31, v[12:13]
	v_add_co_ci_u32_e64 v14, s1, v37, v15, s1
	v_mad_u64_u32 v[32:33], null, s2, v20, 0
	s_clause 0x7
	global_load_dword v1, v[4:5], off
	global_load_dword v17, v[6:7], off
	;; [unrolled: 1-line block ×8, first 2 shown]
	v_lshlrev_b64 v[9:10], 2, v[23:24]
	v_mov_b32_e32 v19, v16
	v_mov_b32_e32 v28, v31
	v_mov_b32_e32 v8, v33
	v_lshlrev_b64 v[18:19], 2, v[18:19]
	v_mad_u64_u32 v[13:14], null, s3, v20, v[8:9]
	v_mov_b32_e32 v8, v35
	v_add_co_u32 v9, s1, v36, v9
	v_add_co_ci_u32_e64 v10, s1, v37, v10, s1
	v_add_co_u32 v18, s1, v36, v18
	v_mad_u64_u32 v[20:21], null, s3, v38, v[8:9]
	v_lshlrev_b64 v[21:22], 2, v[27:28]
	v_mov_b32_e32 v33, v13
	v_add_co_ci_u32_e64 v19, s1, v37, v19, s1
	v_mov_b32_e32 v35, v20
	v_lshlrev_b64 v[13:14], 2, v[32:33]
	v_add_co_u32 v20, s1, v36, v21
	v_add_co_ci_u32_e64 v21, s1, v37, v22, s1
	v_lshlrev_b64 v[22:23], 2, v[34:35]
	v_add_co_u32 v24, s1, v36, v13
	v_add_co_ci_u32_e64 v25, s1, v37, v14, s1
	v_add_co_u32 v22, s1, v36, v22
	v_add_co_ci_u32_e64 v23, s1, v37, v23, s1
	s_clause 0x4
	global_load_dword v14, v[9:10], off
	global_load_dword v13, v[18:19], off
	;; [unrolled: 1-line block ×5, first 2 shown]
	s_waitcnt vmcnt(12)
	v_lshrrev_b32_e32 v8, 16, v1
	s_waitcnt vmcnt(11)
	v_lshrrev_b32_e32 v28, 16, v17
	;; [unrolled: 2-line block ×13, first 2 shown]
.LBB0_11:
	s_or_b32 exec_lo, exec_lo, s4
	s_and_saveexec_b32 s1, s0
	s_cbranch_execz .LBB0_13
; %bb.12:
	v_sub_f16_e32 v56, v17, v10
	v_add_f16_e32 v33, v28, v16
	v_sub_f16_e32 v55, v15, v9
	v_add_f16_e32 v32, v27, v18
	v_sub_f16_e32 v54, v12, v11
	v_mul_f16_e32 v64, 0xba95, v56
	v_add_f16_e32 v30, v26, v19
	v_mul_f16_e32 v59, 0xbb7b, v55
	v_sub_f16_e32 v53, v7, v13
	v_mul_f16_e32 v62, 0xb3a8, v54
	v_fma_f16 v34, v33, 0x388b, -v64
	v_add_f16_e32 v45, v17, v10
	v_fma_f16 v36, v32, 0xb5ac, -v59
	v_sub_f16_e32 v35, v27, v18
	v_add_f16_e32 v31, v25, v20
	v_add_f16_e32 v37, v8, v34
	v_sub_f16_e32 v34, v28, v16
	v_mul_f16_e32 v60, 0x394e, v53
	v_fma_f16 v38, v30, 0xbbc4, -v62
	v_add_f16_e32 v46, v15, v9
	v_add_f16_e32 v37, v36, v37
	v_mul_f16_e32 v65, 0xba95, v34
	v_mul_f16_e32 v67, 0xbb7b, v35
	v_sub_f16_e32 v36, v26, v19
	v_sub_f16_e32 v42, v6, v14
	v_fma_f16 v40, v31, 0xb9fd, -v60
	v_fmamk_f16 v39, v45, 0x388b, v65
	v_add_f16_e32 v37, v38, v37
	v_fmamk_f16 v43, v46, 0xb5ac, v67
	v_add_f16_e32 v47, v12, v11
	v_mul_f16_e32 v66, 0xb3a8, v36
	v_add_f16_e32 v38, v1, v39
	v_sub_f16_e32 v39, v25, v20
	v_add_f16_e32 v29, v24, v21
	v_sub_f16_e32 v41, v5, v4
	v_mul_f16_e32 v61, 0x3bf1, v42
	v_add_f16_e32 v50, v40, v37
	v_add_f16_e32 v38, v43, v38
	v_fmamk_f16 v43, v47, 0xbbc4, v66
	v_add_f16_e32 v48, v7, v13
	v_mul_f16_e32 v69, 0x394e, v39
	v_sub_f16_e32 v40, v24, v21
	v_fma_f16 v44, v29, 0x2fb7, -v61
	v_add_f16_e32 v37, v23, v22
	v_mul_f16_e32 v52, 0x3770, v41
	v_add_f16_e32 v38, v43, v38
	v_fmamk_f16 v43, v48, 0xb9fd, v69
	v_add_f16_e32 v49, v6, v14
	v_mul_f16_e32 v70, 0x3bf1, v40
	v_mul_f16_e32 v71, 0xbbf1, v56
	v_add_f16_e32 v44, v44, v50
	v_fma_f16 v50, v37, 0x3b15, -v52
	v_add_f16_e32 v43, v43, v38
	v_fmamk_f16 v51, v49, 0x2fb7, v70
	v_fma_f16 v57, v33, 0x2fb7, -v71
	v_mul_f16_e32 v72, 0xb3a8, v55
	v_add_f16_e32 v38, v50, v44
	v_mul_f16_e32 v73, 0x3b7b, v54
	v_add_f16_e32 v44, v51, v43
	v_sub_f16_e32 v43, v23, v22
	v_add_f16_e32 v51, v8, v57
	v_fma_f16 v57, v32, 0xbbc4, -v72
	v_mul_f16_e32 v75, 0xbbf1, v34
	v_add_f16_e32 v50, v5, v4
	v_mul_f16_e32 v74, 0x3770, v43
	v_mul_f16_e32 v76, 0x3770, v53
	v_add_f16_e32 v51, v57, v51
	v_fma_f16 v57, v30, 0xb5ac, -v73
	v_fmamk_f16 v63, v45, 0x2fb7, v75
	v_mul_f16_e32 v77, 0xb3a8, v35
	v_fmamk_f16 v58, v50, 0x3b15, v74
	v_mul_f16_e32 v78, 0xba95, v42
	v_add_f16_e32 v51, v57, v51
	v_fma_f16 v57, v31, 0x3b15, -v76
	v_add_f16_e32 v63, v1, v63
	v_fmamk_f16 v68, v46, 0xbbc4, v77
	v_mul_f16_e32 v79, 0x3b7b, v36
	v_add_f16_e32 v44, v58, v44
	v_add_f16_e32 v51, v57, v51
	v_fma_f16 v57, v29, 0x388b, -v78
	v_add_f16_e32 v58, v68, v63
	v_fmamk_f16 v63, v47, 0xb5ac, v79
	v_mul_f16_e32 v80, 0x3770, v39
	v_mul_f16_e32 v81, 0xb94e, v41
	;; [unrolled: 1-line block ×3, first 2 shown]
	v_add_f16_e32 v51, v57, v51
	v_add_f16_e32 v57, v63, v58
	v_fmamk_f16 v58, v48, 0x3b15, v80
	v_mul_f16_e32 v83, 0xba95, v40
	v_fma_f16 v63, v37, 0xb9fd, -v81
	v_fma_f16 v68, v33, 0xb5ac, -v82
	v_mul_f16_e32 v84, 0x394e, v55
	v_add_f16_e32 v57, v58, v57
	v_fmamk_f16 v58, v49, 0x388b, v83
	v_add_f16_e32 v51, v63, v51
	v_add_f16_e32 v63, v8, v68
	v_fma_f16 v68, v32, 0xb9fd, -v84
	v_mul_f16_e32 v85, 0x3770, v54
	v_mul_f16_e32 v86, 0xbb7b, v34
	v_add_f16_e32 v57, v58, v57
	v_mul_f16_e32 v58, 0xb94e, v43
	v_add_f16_e32 v63, v68, v63
	v_fma_f16 v68, v30, 0x3b15, -v85
	v_mul_f16_e32 v87, 0xbbf1, v53
	v_fmamk_f16 v89, v45, 0xb5ac, v86
	v_mul_f16_e32 v90, 0x394e, v35
	v_fmamk_f16 v88, v50, 0xb9fd, v58
	v_add_f16_e32 v63, v68, v63
	v_fma_f16 v68, v31, 0x2fb7, -v87
	v_mul_f16_e32 v91, 0x33a8, v42
	v_add_f16_e32 v89, v1, v89
	v_fmamk_f16 v92, v46, 0xb9fd, v90
	v_mul_f16_e32 v93, 0x3770, v36
	v_add_f16_e32 v63, v68, v63
	v_fma_f16 v68, v29, 0xbbc4, -v91
	v_add_f16_e32 v57, v88, v57
	v_add_f16_e32 v88, v92, v89
	v_fmamk_f16 v89, v47, 0x3b15, v93
	v_mul_f16_e32 v94, 0xbbf1, v39
	v_add_f16_e32 v63, v68, v63
	v_mul_f16_e32 v97, 0x33a8, v40
	v_mul_f16_e32 v101, 0x3a95, v43
	v_add_f16_e32 v68, v89, v88
	v_fmamk_f16 v96, v48, 0x2fb7, v94
	v_mul_f16_e32 v105, 0x3bf1, v35
	v_fmac_f16_e32 v82, 0xb5ac, v33
	v_fmamk_f16 v103, v50, 0x388b, v101
	v_mul_f16_e32 v92, 0xb94e, v56
	v_add_f16_e32 v68, v96, v68
	v_fmamk_f16 v96, v49, 0xbbc4, v97
	v_mul_f16_e32 v106, 0xba95, v36
	v_add_f16_e32 v82, v8, v82
	v_fmac_f16_e32 v84, 0xb9fd, v32
	v_fma_f16 v86, v45, 0xb5ac, -v86
	v_add_f16_e32 v68, v96, v68
	v_mul_f16_e32 v96, 0xb94e, v34
	v_fma_f16 v88, v33, 0xb9fd, -v92
	v_mul_f16_e32 v89, 0x3bf1, v55
	v_mul_f16_e32 v108, 0x33a8, v39
	v_add_f16_e32 v68, v103, v68
	v_fmamk_f16 v104, v45, 0xb9fd, v96
	v_add_f16_e32 v82, v84, v82
	v_fmac_f16_e32 v85, 0x3b15, v30
	v_add_f16_e32 v86, v1, v86
	v_fma_f16 v90, v46, 0xb9fd, -v90
	v_add_f16_e32 v103, v1, v104
	v_fmamk_f16 v104, v46, 0x2fb7, v105
	v_mul_f16_e32 v95, 0x3a95, v41
	v_add_f16_e32 v88, v8, v88
	v_fma_f16 v99, v32, 0x2fb7, -v89
	v_mul_f16_e32 v100, 0xba95, v54
	v_add_f16_e32 v103, v104, v103
	v_fmamk_f16 v104, v47, 0x388b, v106
	v_mul_f16_e32 v112, 0x3770, v40
	v_add_f16_e32 v82, v85, v82
	v_fmac_f16_e32 v71, 0x2fb7, v33
	v_add_f16_e32 v85, v90, v86
	v_add_f16_e32 v103, v104, v103
	v_fmamk_f16 v104, v48, 0xbbc4, v108
	v_fma_f16 v86, v47, 0x3b15, -v93
	v_fma_f16 v98, v37, 0x388b, -v95
	v_add_f16_e32 v88, v99, v88
	v_fma_f16 v99, v30, 0x388b, -v100
	v_mul_f16_e32 v102, 0x33a8, v53
	v_add_f16_e32 v103, v104, v103
	v_fmamk_f16 v104, v49, 0x3b15, v112
	v_add_f16_e32 v71, v8, v71
	v_fmac_f16_e32 v72, 0xbbc4, v32
	v_add_f16_e32 v85, v86, v85
	v_fma_f16 v86, v48, 0x2fb7, -v94
	v_add_f16_e32 v63, v98, v63
	v_add_f16_e32 v88, v99, v88
	v_fma_f16 v98, v31, 0xbbc4, -v102
	v_mul_f16_e32 v99, 0x3770, v42
	v_add_f16_e32 v103, v104, v103
	v_mul_f16_e32 v104, 0xbb7b, v43
	v_mul_f16_e32 v115, 0xb3a8, v34
	v_add_f16_e32 v71, v72, v71
	v_fmac_f16_e32 v73, 0xb5ac, v30
	v_add_f16_e32 v72, v86, v85
	v_fma_f16 v85, v49, 0xbbc4, -v97
	v_fma_f16 v75, v45, 0x2fb7, -v75
	v_add_f16_e32 v88, v98, v88
	v_fma_f16 v98, v29, 0x3b15, -v99
	v_mul_f16_e32 v107, 0xb3a8, v56
	v_fmamk_f16 v117, v50, 0xb5ac, v104
	v_fmamk_f16 v118, v45, 0xbbc4, v115
	v_mul_f16_e32 v119, 0x3770, v35
	v_add_f16_e32 v71, v73, v71
	v_add_f16_e32 v72, v85, v72
	v_fma_f16 v73, v50, 0x388b, -v101
	v_add_f16_e32 v75, v1, v75
	v_fma_f16 v77, v46, 0xbbc4, -v77
	v_add_f16_e32 v88, v98, v88
	v_mul_f16_e32 v98, 0xbb7b, v41
	v_fma_f16 v110, v33, 0xbbc4, -v107
	v_mul_f16_e32 v111, 0x3770, v55
	v_add_f16_e32 v103, v117, v103
	v_add_f16_e32 v117, v1, v118
	v_fmamk_f16 v118, v46, 0x3b15, v119
	v_mul_f16_e32 v120, 0xb94e, v36
	v_add_f16_e32 v72, v73, v72
	v_fmac_f16_e32 v64, 0x388b, v33
	v_add_f16_e32 v73, v77, v75
	v_fma_f16 v75, v47, 0xb5ac, -v79
	v_fma_f16 v109, v37, 0xb5ac, -v98
	v_add_f16_e32 v110, v8, v110
	v_fma_f16 v113, v32, 0x3b15, -v111
	v_mul_f16_e32 v114, 0xb94e, v54
	v_fmac_f16_e32 v107, 0xbbc4, v33
	v_add_f16_e32 v117, v118, v117
	v_fmamk_f16 v118, v47, 0xb9fd, v120
	v_mul_f16_e32 v121, 0x3a95, v39
	v_add_f16_e32 v64, v8, v64
	v_fmac_f16_e32 v59, 0xb5ac, v32
	v_add_f16_e32 v73, v75, v73
	v_fma_f16 v75, v48, 0x3b15, -v80
	v_fma_f16 v65, v45, 0x388b, -v65
	v_add_f16_e32 v88, v109, v88
	v_add_f16_e32 v109, v113, v110
	v_fma_f16 v110, v30, 0xb9fd, -v114
	v_mul_f16_e32 v113, 0x3a95, v53
	v_add_f16_e32 v107, v8, v107
	v_fmac_f16_e32 v111, 0x3b15, v32
	v_add_f16_e32 v117, v118, v117
	v_fmamk_f16 v118, v48, 0x388b, v121
	v_mul_f16_e32 v123, 0xbb7b, v40
	v_add_f16_e32 v59, v59, v64
	v_fmac_f16_e32 v62, 0xbbc4, v30
	v_add_f16_e32 v64, v75, v73
	v_fma_f16 v73, v49, 0x388b, -v83
	v_add_f16_e32 v65, v1, v65
	v_fma_f16 v67, v46, 0xb5ac, -v67
	;; [unrolled: 2-line block ×3, first 2 shown]
	v_mul_f16_e32 v116, 0xbb7b, v42
	v_add_f16_e32 v107, v111, v107
	v_fmac_f16_e32 v114, 0xb9fd, v30
	v_add_f16_e32 v111, v118, v117
	v_fmamk_f16 v117, v49, 0xb5ac, v123
	v_mul_f16_e32 v118, 0x3bf1, v43
	v_fma_f16 v115, v45, 0xbbc4, -v115
	v_add_f16_e32 v59, v62, v59
	v_fmac_f16_e32 v60, 0xb9fd, v31
	v_mul_f16_e32 v56, 0xb770, v56
	v_add_f16_e32 v62, v73, v64
	v_add_f16_e32 v64, v67, v65
	v_fma_f16 v65, v47, 0xbbc4, -v66
	v_add_f16_e32 v109, v110, v109
	v_fma_f16 v110, v29, 0xb5ac, -v116
	v_add_f16_e32 v107, v114, v107
	v_fmac_f16_e32 v113, 0x388b, v31
	v_add_f16_e32 v111, v117, v111
	v_fmamk_f16 v114, v50, 0x2fb7, v118
	v_add_f16_e32 v115, v1, v115
	v_fma_f16 v117, v46, 0x3b15, -v119
	v_add_f16_e32 v59, v60, v59
	v_fmamk_f16 v60, v33, 0x3b15, v56
	v_mul_f16_e32 v55, 0xba95, v55
	v_fmac_f16_e32 v61, 0x2fb7, v29
	v_add_f16_e32 v64, v65, v64
	v_fma_f16 v65, v48, 0xb9fd, -v69
	v_add_f16_e32 v109, v110, v109
	v_mul_f16_e32 v110, 0x3bf1, v41
	v_add_f16_e32 v107, v113, v107
	v_fmac_f16_e32 v116, 0xb5ac, v29
	v_add_f16_e32 v111, v114, v111
	v_fmac_f16_e32 v92, 0xb9fd, v33
	v_add_f16_e32 v113, v117, v115
	v_fma_f16 v114, v47, 0xb9fd, -v120
	v_add_f16_e32 v60, v8, v60
	v_fmamk_f16 v66, v32, 0x388b, v55
	v_mul_f16_e32 v54, 0xbbf1, v54
	v_add_f16_e32 v59, v61, v59
	v_add_f16_e32 v61, v65, v64
	v_fma_f16 v64, v49, 0x2fb7, -v70
	v_fma_f16 v122, v37, 0x2fb7, -v110
	v_add_f16_e32 v107, v116, v107
	v_fmac_f16_e32 v110, 0x2fb7, v37
	v_add_f16_e32 v92, v8, v92
	v_fmac_f16_e32 v89, 0x2fb7, v32
	v_add_f16_e32 v113, v114, v113
	v_fma_f16 v114, v48, 0x388b, -v121
	v_fma_f16 v96, v45, 0xb9fd, -v96
	v_add_f16_e32 v60, v66, v60
	v_fmamk_f16 v65, v30, 0x2fb7, v54
	v_mul_f16_e32 v53, 0xbb7b, v53
	v_fmac_f16_e32 v52, 0x3b15, v37
	v_add_f16_e32 v61, v64, v61
	v_fma_f16 v64, v50, 0x3b15, -v74
	v_mul_f16_e32 v45, 0x3b15, v45
	v_add_f16_e32 v107, v110, v107
	v_add_f16_e32 v89, v89, v92
	v_fmac_f16_e32 v100, 0x388b, v30
	v_add_f16_e32 v92, v114, v113
	v_fma_f16 v110, v49, 0xb5ac, -v123
	v_add_f16_e32 v96, v1, v96
	v_fma_f16 v105, v46, 0x2fb7, -v105
	v_add_f16_e32 v60, v65, v60
	v_fmamk_f16 v65, v31, 0xb5ac, v53
	v_add_f16_e32 v52, v52, v59
	v_add_f16_e32 v59, v64, v61
	v_fmamk_f16 v61, v34, 0x3770, v45
	v_mul_f16_e32 v46, 0x388b, v46
	v_add_f16_e32 v28, v8, v28
	v_add_f16_e32 v17, v1, v17
	;; [unrolled: 1-line block ×4, first 2 shown]
	v_fma_f16 v100, v50, 0x2fb7, -v118
	v_add_f16_e32 v96, v105, v96
	v_fma_f16 v105, v47, 0x388b, -v106
	v_add_f16_e32 v60, v65, v60
	v_add_f16_e32 v61, v1, v61
	v_fmamk_f16 v65, v35, 0x3a95, v46
	v_mul_f16_e32 v47, 0x2fb7, v47
	v_add_f16_e32 v27, v28, v27
	v_add_f16_e32 v15, v17, v15
	;; [unrolled: 1-line block ×3, first 2 shown]
	v_fma_f16 v100, v48, 0xbbc4, -v108
	v_add_f16_e32 v17, v65, v61
	v_fmamk_f16 v28, v36, 0x3bf1, v47
	v_mul_f16_e32 v48, 0xb5ac, v48
	v_add_f16_e32 v26, v27, v26
	v_add_f16_e32 v12, v15, v12
	v_mul_f16_e32 v27, 0xb9fd, v49
	v_add_f16_e32 v15, v28, v17
	v_fmamk_f16 v17, v39, 0x3b7b, v48
	v_add_f16_e32 v25, v26, v25
	v_add_f16_e32 v7, v12, v7
	v_fmac_f16_e32 v45, 0xb770, v34
	v_fmac_f16_e32 v46, 0xba95, v35
	v_add_f16_e32 v12, v17, v15
	v_fmamk_f16 v15, v40, 0x394e, v27
	v_mul_f16_e32 v17, 0xbbc4, v50
	v_add_f16_e32 v24, v25, v24
	v_add_f16_e32 v6, v7, v6
	;; [unrolled: 1-line block ×4, first 2 shown]
	v_fmamk_f16 v12, v43, 0x33a8, v17
	v_add_f16_e32 v23, v24, v23
	v_add_f16_e32 v5, v6, v5
	v_fma_f16 v15, v33, 0x3b15, -v56
	v_fmac_f16_e32 v102, 0xbbc4, v31
	v_add_f16_e32 v7, v12, v7
	v_add_f16_e32 v12, v23, v22
	;; [unrolled: 1-line block ×4, first 2 shown]
	v_fma_f16 v5, v32, 0x388b, -v55
	v_mul_f16_e32 v42, 0xb94e, v42
	v_add_f16_e32 v12, v12, v21
	v_add_f16_e32 v4, v4, v14
	;; [unrolled: 1-line block ×4, first 2 shown]
	v_fma_f16 v8, v30, 0x2fb7, -v54
	v_add_f16_e32 v12, v12, v20
	v_add_f16_e32 v4, v4, v13
	v_fmac_f16_e32 v47, 0xbbf1, v36
	v_fmac_f16_e32 v87, 0x2fb7, v31
	;; [unrolled: 1-line block ×3, first 2 shown]
	v_add_f16_e32 v5, v8, v5
	v_fma_f16 v8, v31, 0xb5ac, -v53
	v_add_f16_e32 v12, v12, v19
	v_add_f16_e32 v4, v4, v11
	;; [unrolled: 1-line block ×3, first 2 shown]
	v_fmac_f16_e32 v99, 0x3b15, v29
	v_add_f16_e32 v96, v105, v96
	v_fmamk_f16 v64, v29, 0xb9fd, v42
	v_mul_f16_e32 v41, 0xb3a8, v41
	v_add_f16_e32 v1, v47, v1
	v_fmac_f16_e32 v48, 0xbb7b, v39
	v_add_f16_e32 v82, v87, v82
	v_fmac_f16_e32 v91, 0xbbc4, v29
	v_add_f16_e32 v71, v76, v71
	v_fmac_f16_e32 v78, 0x388b, v29
	v_add_f16_e32 v5, v8, v5
	v_add_f16_e32 v8, v12, v18
	;; [unrolled: 1-line block ×5, first 2 shown]
	v_fma_f16 v99, v49, 0x3b15, -v112
	v_add_f16_e32 v60, v64, v60
	v_fmamk_f16 v28, v37, 0xbbc4, v41
	v_fma_f16 v9, v29, 0xb9fd, -v42
	v_add_f16_e32 v1, v48, v1
	v_fmac_f16_e32 v27, 0xb94e, v40
	v_add_f16_e32 v82, v91, v82
	v_fmac_f16_e32 v95, 0x388b, v37
	;; [unrolled: 2-line block ×3, first 2 shown]
	v_fma_f16 v6, v50, 0xb9fd, -v58
	v_add_f16_sdwa v8, v8, v16 dst_sel:WORD_1 dst_unused:UNUSED_PAD src0_sel:DWORD src1_sel:DWORD
	v_add_f16_e32 v4, v4, v10
	v_fmac_f16_e32 v98, 0xb5ac, v37
	v_add_f16_e32 v84, v99, v96
	v_fma_f16 v96, v50, 0xb5ac, -v104
	v_add_f16_e32 v26, v28, v60
	v_add_f16_e32 v5, v9, v5
	v_fma_f16 v9, v37, 0xbbc4, -v41
	v_add_f16_e32 v1, v27, v1
	v_fmac_f16_e32 v17, 0xb3a8, v43
	v_add_f16_e32 v82, v95, v82
	v_add_f16_e32 v71, v81, v71
	v_or_b32_sdwa v4, v8, v4 dst_sel:DWORD dst_unused:UNUSED_PAD src0_sel:DWORD src1_sel:WORD_0
	v_mad_u32_u24 v8, v0, 52, 0
	v_add_f16_e32 v6, v6, v62
	v_add_f16_e32 v89, v98, v89
	;; [unrolled: 1-line block ×3, first 2 shown]
	v_pack_b32_f16 v10, v59, v52
	v_pack_b32_f16 v7, v7, v26
	v_add_f16_e32 v109, v122, v109
	v_add_f16_e32 v5, v9, v5
	;; [unrolled: 1-line block ×3, first 2 shown]
	ds_write_b32 v8, v4
	ds_write2_b32 v8, v7, v10 offset0:1 offset1:2
	v_pack_b32_f16 v4, v72, v82
	v_pack_b32_f16 v6, v6, v71
	;; [unrolled: 1-line block ×10, first 2 shown]
	ds_write2_b32 v8, v6, v4 offset0:3 offset1:4
	ds_write2_b32 v8, v9, v7 offset0:5 offset1:6
	;; [unrolled: 1-line block ×5, first 2 shown]
.LBB0_13:
	s_or_b32 exec_lo, exec_lo, s1
	v_and_b32_e32 v1, 0xff, v0
	v_add_nc_u32_e32 v4, 52, v0
	v_add_nc_u32_e32 v5, 0x68, v0
	v_mov_b32_e32 v9, 3
	s_waitcnt lgkmcnt(0)
	v_mul_lo_u16 v1, 0x4f, v1
	v_and_b32_e32 v6, 0xff, v4
	v_and_b32_e32 v8, 0xff, v5
	s_barrier
	buffer_gl0_inv
	v_lshrrev_b16 v1, 10, v1
	v_mul_lo_u16 v6, 0x4f, v6
	v_mov_b32_e32 v37, 0xd0
	v_mov_b32_e32 v38, 2
	v_mul_u32_u24_e32 v36, 5, v0
	v_mul_lo_u16 v7, v1, 13
	v_lshrrev_b16 v32, 10, v6
	v_mul_lo_u16 v6, 0x4f, v8
	v_mul_u32_u24_sdwa v1, v1, v37 dst_sel:DWORD dst_unused:UNUSED_PAD src0_sel:WORD_0 src1_sel:DWORD
	v_lshlrev_b32_e32 v36, 2, v36
	v_sub_nc_u16 v31, v0, v7
	v_mul_lo_u16 v8, v32, 13
	v_lshrrev_b16 v33, 10, v6
	v_mul_u32_u24_sdwa v32, v32, v37 dst_sel:DWORD dst_unused:UNUSED_PAD src0_sel:WORD_0 src1_sel:DWORD
	v_mul_u32_u24_sdwa v7, v31, v9 dst_sel:DWORD dst_unused:UNUSED_PAD src0_sel:BYTE_0 src1_sel:DWORD
	v_sub_nc_u16 v34, v4, v8
	v_lshlrev_b32_sdwa v31, v38, v31 dst_sel:DWORD dst_unused:UNUSED_PAD src0_sel:DWORD src1_sel:BYTE_0
	v_lshlrev_b32_e32 v6, 2, v7
	v_mul_lo_u16 v7, v33, 13
	v_mul_u32_u24_sdwa v33, v33, v37 dst_sel:DWORD dst_unused:UNUSED_PAD src0_sel:WORD_0 src1_sel:DWORD
	v_add3_u32 v1, 0, v1, v31
	global_load_dwordx3 v[10:12], v6, s[8:9]
	v_mul_u32_u24_sdwa v6, v34, v9 dst_sel:DWORD dst_unused:UNUSED_PAD src0_sel:BYTE_0 src1_sel:DWORD
	v_sub_nc_u16 v35, v5, v7
	v_lshlrev_b32_sdwa v34, v38, v34 dst_sel:DWORD dst_unused:UNUSED_PAD src0_sel:DWORD src1_sel:BYTE_0
	v_lshlrev_b32_e32 v6, 2, v6
	v_mul_u32_u24_sdwa v7, v35, v9 dst_sel:DWORD dst_unused:UNUSED_PAD src0_sel:BYTE_0 src1_sel:DWORD
	v_lshlrev_b32_sdwa v35, v38, v35 dst_sel:DWORD dst_unused:UNUSED_PAD src0_sel:DWORD src1_sel:BYTE_0
	v_add3_u32 v31, 0, v32, v34
	global_load_dwordx3 v[13:15], v6, s[8:9]
	v_lshlrev_b32_e32 v6, 2, v7
	v_add3_u32 v32, 0, v33, v35
	global_load_dwordx3 v[16:18], v6, s[8:9]
	v_lshl_add_u32 v6, v0, 2, 0
	ds_read2_b32 v[19:20], v6 offset1:52
	ds_read2_b32 v[21:22], v6 offset0:104 offset1:156
	v_add_nc_u32_e32 v8, 0x800, v6
	v_add_nc_u32_e32 v9, 0x200, v6
	;; [unrolled: 1-line block ×3, first 2 shown]
	ds_read2_b32 v[23:24], v8 offset0:8 offset1:60
	ds_read2_b32 v[25:26], v9 offset0:80 offset1:132
	ds_read2_b32 v[27:28], v7 offset0:160 offset1:212
	ds_read2_b32 v[29:30], v7 offset0:56 offset1:108
	s_waitcnt vmcnt(0) lgkmcnt(0)
	s_barrier
	buffer_gl0_inv
	v_lshrrev_b32_e32 v39, 16, v19
	v_lshrrev_b32_e32 v37, 16, v22
	;; [unrolled: 1-line block ×12, first 2 shown]
	v_mul_f16_sdwa v33, v10, v37 dst_sel:DWORD dst_unused:UNUSED_PAD src0_sel:WORD_1 src1_sel:DWORD
	v_mul_f16_sdwa v34, v10, v22 dst_sel:DWORD dst_unused:UNUSED_PAD src0_sel:WORD_1 src1_sel:DWORD
	;; [unrolled: 1-line block ×6, first 2 shown]
	v_fma_f16 v22, v10, v22, -v33
	v_fmac_f16_e32 v34, v10, v37
	v_fma_f16 v10, v11, v29, -v35
	v_fmac_f16_e32 v49, v11, v46
	;; [unrolled: 2-line block ×3, first 2 shown]
	v_mul_f16_sdwa v12, v13, v38 dst_sel:DWORD dst_unused:UNUSED_PAD src0_sel:WORD_1 src1_sel:DWORD
	v_mul_f16_sdwa v28, v13, v25 dst_sel:DWORD dst_unused:UNUSED_PAD src0_sel:WORD_1 src1_sel:DWORD
	;; [unrolled: 1-line block ×4, first 2 shown]
	v_mul_f16_sdwa v35, v42, v15 dst_sel:DWORD dst_unused:UNUSED_PAD src0_sel:DWORD src1_sel:WORD_1
	v_mul_f16_sdwa v37, v23, v15 dst_sel:DWORD dst_unused:UNUSED_PAD src0_sel:DWORD src1_sel:WORD_1
	;; [unrolled: 1-line block ×8, first 2 shown]
	v_fma_f16 v12, v13, v25, -v12
	v_fmac_f16_e32 v28, v13, v38
	v_fma_f16 v13, v14, v30, -v29
	v_fmac_f16_e32 v33, v14, v48
	;; [unrolled: 2-line block ×6, first 2 shown]
	v_sub_f16_e32 v10, v19, v10
	v_sub_f16_e32 v23, v39, v49
	v_sub_f16_e32 v11, v22, v11
	v_sub_f16_e32 v24, v34, v51
	v_sub_f16_e32 v13, v20, v13
	v_sub_f16_e32 v26, v40, v33
	v_sub_f16_e32 v14, v12, v14
	v_sub_f16_e32 v27, v28, v37
	v_sub_f16_e32 v16, v21, v16
	v_sub_f16_e32 v29, v41, v52
	v_sub_f16_e32 v17, v15, v17
	v_sub_f16_e32 v30, v47, v54
	v_fma_f16 v18, v19, 2.0, -v10
	v_fma_f16 v19, v39, 2.0, -v23
	v_fma_f16 v22, v22, 2.0, -v11
	v_fma_f16 v25, v34, 2.0, -v24
	v_sub_f16_e32 v24, v10, v24
	v_add_f16_e32 v11, v23, v11
	v_fma_f16 v20, v20, 2.0, -v13
	v_fma_f16 v33, v40, 2.0, -v26
	;; [unrolled: 1-line block ×8, first 2 shown]
	v_sub_f16_e32 v22, v18, v22
	v_sub_f16_e32 v25, v19, v25
	v_fma_f16 v10, v10, 2.0, -v24
	v_fma_f16 v23, v23, 2.0, -v11
	v_sub_f16_e32 v27, v13, v27
	v_add_f16_e32 v14, v26, v14
	v_sub_f16_e32 v30, v16, v30
	v_add_f16_e32 v17, v29, v17
	v_pack_b32_f16 v11, v24, v11
	v_sub_f16_e32 v12, v20, v12
	v_sub_f16_e32 v24, v33, v28
	;; [unrolled: 1-line block ×4, first 2 shown]
	v_fma_f16 v18, v18, 2.0, -v22
	v_fma_f16 v19, v19, 2.0, -v25
	;; [unrolled: 1-line block ×6, first 2 shown]
	v_pack_b32_f16 v10, v10, v23
	v_pack_b32_f16 v22, v22, v25
	v_fma_f16 v20, v20, 2.0, -v12
	v_fma_f16 v23, v33, 2.0, -v24
	;; [unrolled: 1-line block ×4, first 2 shown]
	v_pack_b32_f16 v18, v18, v19
	v_pack_b32_f16 v14, v27, v14
	;; [unrolled: 1-line block ×3, first 2 shown]
	ds_write2_b32 v1, v22, v11 offset0:26 offset1:39
	v_pack_b32_f16 v11, v13, v26
	v_pack_b32_f16 v13, v16, v29
	;; [unrolled: 1-line block ×6, first 2 shown]
	ds_write2_b32 v1, v18, v10 offset1:13
	ds_write2_b32 v31, v12, v14 offset0:26 offset1:39
	ds_write2_b32 v31, v16, v11 offset1:13
	ds_write2_b32 v32, v19, v13 offset1:13
	ds_write2_b32 v32, v15, v17 offset0:26 offset1:39
	s_waitcnt lgkmcnt(0)
	s_barrier
	buffer_gl0_inv
	s_clause 0x1
	global_load_dwordx4 v[10:13], v36, s[8:9] offset:156
	global_load_dword v1, v36, s[8:9] offset:172
	ds_read2_b32 v[14:15], v6 offset1:52
	ds_read2_b32 v[16:17], v6 offset0:104 offset1:156
	ds_read2_b32 v[18:19], v9 offset0:80 offset1:132
	;; [unrolled: 1-line block ×5, first 2 shown]
	s_waitcnt vmcnt(0) lgkmcnt(0)
	s_barrier
	buffer_gl0_inv
	v_lshrrev_b32_e32 v26, 16, v14
	v_lshrrev_b32_e32 v28, 16, v17
	;; [unrolled: 1-line block ×12, first 2 shown]
	v_mul_f16_sdwa v40, v11, v34 dst_sel:DWORD dst_unused:UNUSED_PAD src0_sel:WORD_1 src1_sel:DWORD
	v_mul_f16_sdwa v41, v11, v18 dst_sel:DWORD dst_unused:UNUSED_PAD src0_sel:WORD_1 src1_sel:DWORD
	;; [unrolled: 1-line block ×10, first 2 shown]
	v_mul_f16_sdwa v48, v28, v10 dst_sel:DWORD dst_unused:UNUSED_PAD src0_sel:DWORD src1_sel:WORD_1
	v_mul_f16_sdwa v49, v17, v10 dst_sel:DWORD dst_unused:UNUSED_PAD src0_sel:DWORD src1_sel:WORD_1
	;; [unrolled: 1-line block ×10, first 2 shown]
	v_fma_f16 v18, v11, v18, -v40
	v_fmac_f16_e32 v41, v11, v34
	v_fma_f16 v20, v12, v20, -v42
	v_fmac_f16_e32 v43, v12, v35
	;; [unrolled: 2-line block ×10, first 2 shown]
	v_add_f16_e32 v19, v18, v22
	v_add_f16_e32 v25, v41, v45
	v_add_f16_e32 v29, v20, v24
	v_add_f16_e32 v32, v43, v47
	v_add_f16_e32 v23, v26, v41
	v_sub_f16_e32 v30, v43, v47
	v_add_f16_e32 v31, v39, v43
	v_add_f16_e32 v37, v51, v55
	;; [unrolled: 1-line block ×5, first 2 shown]
	v_sub_f16_e32 v21, v41, v45
	v_sub_f16_e32 v18, v18, v22
	v_add_f16_e32 v28, v16, v20
	v_sub_f16_e32 v20, v20, v24
	v_add_f16_e32 v33, v15, v10
	v_add_f16_e32 v36, v27, v51
	;; [unrolled: 1-line block ×4, first 2 shown]
	v_fma_f16 v14, -0.5, v19, v14
	v_fmac_f16_e32 v26, -0.5, v25
	v_fmac_f16_e32 v16, -0.5, v29
	v_fmac_f16_e32 v39, -0.5, v32
	v_add_f16_e32 v34, v10, v12
	v_sub_f16_e32 v10, v10, v12
	v_sub_f16_e32 v41, v53, v57
	;; [unrolled: 1-line block ×3, first 2 shown]
	v_add_f16_e32 v19, v23, v45
	v_add_f16_e32 v23, v31, v47
	v_fmac_f16_e32 v27, -0.5, v37
	v_fmac_f16_e32 v17, -0.5, v40
	;; [unrolled: 1-line block ×3, first 2 shown]
	v_add_f16_e32 v1, v1, v22
	v_add_f16_e32 v22, v28, v24
	;; [unrolled: 1-line block ×6, first 2 shown]
	v_fmamk_f16 v28, v21, 0x3aee, v14
	v_fmac_f16_e32 v14, 0xbaee, v21
	v_fmamk_f16 v21, v18, 0xbaee, v26
	v_fmac_f16_e32 v26, 0x3aee, v18
	v_fmamk_f16 v18, v30, 0x3aee, v16
	v_fmamk_f16 v29, v20, 0xbaee, v39
	v_fmac_f16_e32 v16, 0xbaee, v30
	v_fmac_f16_e32 v39, 0x3aee, v20
	v_sub_f16_e32 v35, v51, v55
	v_fmac_f16_e32 v15, -0.5, v34
	v_add_f16_e32 v30, v19, v23
	v_sub_f16_e32 v19, v19, v23
	v_fmamk_f16 v23, v10, 0xbaee, v27
	v_fmac_f16_e32 v27, 0x3aee, v10
	v_fmamk_f16 v10, v41, 0x3aee, v17
	v_fmamk_f16 v31, v11, 0xbaee, v49
	v_fmac_f16_e32 v17, 0xbaee, v41
	v_fmac_f16_e32 v49, 0x3aee, v11
	v_add_f16_e32 v11, v12, v13
	v_add_f16_e32 v32, v24, v25
	v_sub_f16_e32 v12, v12, v13
	v_sub_f16_e32 v13, v24, v25
	v_mul_f16_e32 v24, 0x3aee, v29
	v_mul_f16_e32 v33, 0xbaee, v18
	v_mul_f16_e32 v25, -0.5, v16
	v_mul_f16_e32 v34, -0.5, v39
	v_add_f16_e32 v20, v1, v22
	v_sub_f16_e32 v1, v1, v22
	v_fmamk_f16 v22, v35, 0x3aee, v15
	v_fmac_f16_e32 v15, 0xbaee, v35
	v_mul_f16_e32 v35, 0x3aee, v31
	v_mul_f16_e32 v37, 0xbaee, v10
	v_mul_f16_e32 v36, -0.5, v17
	v_mul_f16_e32 v38, -0.5, v49
	v_fmac_f16_e32 v24, 0.5, v18
	v_fmac_f16_e32 v33, 0.5, v29
	v_fmac_f16_e32 v25, 0x3aee, v39
	v_fmac_f16_e32 v34, 0xbaee, v16
	v_fmac_f16_e32 v35, 0.5, v10
	v_fmac_f16_e32 v37, 0.5, v31
	v_fmac_f16_e32 v36, 0x3aee, v49
	v_fmac_f16_e32 v38, 0xbaee, v17
	v_add_f16_e32 v10, v28, v24
	v_add_f16_e32 v16, v21, v33
	v_pack_b32_f16 v12, v12, v13
	v_add_f16_e32 v13, v14, v25
	v_add_f16_e32 v17, v26, v34
	v_pack_b32_f16 v1, v1, v19
	v_sub_f16_e32 v18, v28, v24
	v_sub_f16_e32 v14, v14, v25
	;; [unrolled: 1-line block ×4, first 2 shown]
	v_add_f16_e32 v24, v22, v35
	v_add_f16_e32 v26, v23, v37
	;; [unrolled: 1-line block ×4, first 2 shown]
	v_pack_b32_f16 v20, v20, v30
	v_sub_f16_e32 v22, v22, v35
	v_sub_f16_e32 v15, v15, v36
	;; [unrolled: 1-line block ×4, first 2 shown]
	v_pack_b32_f16 v10, v10, v16
	v_pack_b32_f16 v13, v13, v17
	;; [unrolled: 1-line block ×9, first 2 shown]
	ds_write2_b32 v6, v20, v10 offset1:52
	ds_write2_b32 v6, v13, v1 offset0:104 offset1:156
	ds_write2_b32 v9, v16, v14 offset0:80 offset1:132
	;; [unrolled: 1-line block ×5, first 2 shown]
	s_waitcnt lgkmcnt(0)
	s_barrier
	buffer_gl0_inv
	s_and_saveexec_b32 s0, vcc_lo
	s_cbranch_execz .LBB0_15
; %bb.14:
	v_mov_b32_e32 v1, 0
	v_mad_u64_u32 v[19:20], null, s2, v0, 0
	v_mad_u64_u32 v[21:22], null, s2, v5, 0
	v_lshlrev_b64 v[10:11], 2, v[0:1]
	v_add_nc_u32_e32 v35, 0x138, v0
	v_add_nc_u32_e32 v36, 0x16c, v0
	;; [unrolled: 1-line block ×5, first 2 shown]
	v_add_co_u32 v10, vcc_lo, s8, v10
	v_add_co_ci_u32_e32 v11, vcc_lo, s9, v11, vcc_lo
	v_add_nc_u32_e32 v38, 0x9c, v0
	v_mad_u64_u32 v[23:24], null, s2, v35, 0
	s_clause 0x4
	global_load_dword v42, v[10:11], off offset:1196
	global_load_dword v43, v[10:11], off offset:1404
	;; [unrolled: 1-line block ×5, first 2 shown]
	v_add_co_u32 v10, vcc_lo, 0x800, v10
	v_add_co_ci_u32_e32 v11, vcc_lo, 0, v11, vcc_lo
	v_add_co_u32 v48, vcc_lo, s12, v2
	v_mad_u64_u32 v[1:2], null, s2, v4, 0
	global_load_dword v47, v[10:11], off offset:188
	v_add_co_ci_u32_e32 v49, vcc_lo, s13, v3, vcc_lo
	v_mad_u64_u32 v[25:26], null, s2, v36, 0
	v_lshrrev_b32_e32 v33, 3, v40
	v_lshrrev_b32_e32 v34, 3, v41
	v_mov_b32_e32 v3, v20
	v_mov_b32_e32 v20, v22
	v_add_nc_u32_e32 v39, 0x1d4, v0
	v_mad_u64_u32 v[27:28], null, s2, v37, 0
	v_mad_u64_u32 v[29:30], null, s2, v38, 0
	v_mul_hi_u32 v50, 0x1a41a41b, v33
	v_mul_hi_u32 v51, 0x1a41a41b, v34
	v_mad_u64_u32 v[33:34], null, s3, v0, v[3:4]
	v_mad_u64_u32 v[2:3], null, s3, v4, v[2:3]
	;; [unrolled: 1-line block ×3, first 2 shown]
	ds_read2_b32 v[9:10], v9 offset0:80 offset1:132
	ds_read2_b32 v[11:12], v8 offset0:8 offset1:60
	;; [unrolled: 1-line block ×4, first 2 shown]
	ds_read2_b32 v[17:18], v6 offset1:52
	ds_read2_b32 v[7:8], v7 offset0:56 offset1:108
	v_mad_u64_u32 v[31:32], null, s2, v39, 0
	v_mov_b32_e32 v0, v24
	v_mov_b32_e32 v3, v26
	v_mov_b32_e32 v5, v28
	v_mov_b32_e32 v20, v30
	v_mad_u64_u32 v[34:35], null, s3, v35, v[0:1]
	v_mad_u64_u32 v[35:36], null, s3, v36, v[3:4]
	v_mov_b32_e32 v22, v32
	v_mad_u64_u32 v[36:37], null, s3, v37, v[5:6]
	v_mad_u64_u32 v[37:38], null, s3, v38, v[20:21]
	v_lshrrev_b32_e32 v0, 2, v50
	v_lshrrev_b32_e32 v3, 2, v51
	v_mov_b32_e32 v20, v33
	v_mad_u64_u32 v[38:39], null, s3, v39, v[22:23]
	v_mov_b32_e32 v22, v4
	v_mad_u32_u24 v39, 0x138, v0, v40
	v_mad_u32_u24 v40, 0x138, v3, v41
	v_lshlrev_b64 v[3:4], 2, v[19:20]
	s_waitcnt lgkmcnt(5)
	v_mov_b32_e32 v50, v10
	v_mov_b32_e32 v51, v9
	s_waitcnt lgkmcnt(3)
	v_mov_b32_e32 v52, v14
	v_lshlrev_b64 v[0:1], 2, v[1:2]
	v_mov_b32_e32 v53, v13
	s_waitcnt lgkmcnt(1)
	v_mov_b32_e32 v54, v18
	v_mov_b32_e32 v55, v17
	ds_read_u16_d16 v50, v6 offset:1040
	ds_read_u16_d16 v51, v6 offset:832
	;; [unrolled: 1-line block ×5, first 2 shown]
	ds_read_u16_d16 v55, v6
	v_lshlrev_b64 v[5:6], 2, v[21:22]
	v_mad_u64_u32 v[19:20], null, s2, v39, 0
	v_add_nc_u32_e32 v41, 0x138, v39
	v_add_co_u32 v2, vcc_lo, v48, v3
	v_add_nc_u32_e32 v56, 0x138, v40
	v_add_co_ci_u32_e32 v3, vcc_lo, v49, v4, vcc_lo
	v_mov_b32_e32 v24, v34
	v_add_co_u32 v0, vcc_lo, v48, v0
	v_mad_u64_u32 v[21:22], null, s2, v40, 0
	v_add_co_ci_u32_e32 v1, vcc_lo, v49, v1, vcc_lo
	v_mad_u64_u32 v[33:34], null, s2, v41, 0
	v_mov_b32_e32 v26, v35
	v_mov_b32_e32 v28, v36
	v_add_co_u32 v4, vcc_lo, v48, v5
	v_mad_u64_u32 v[35:36], null, s2, v56, 0
	v_lshlrev_b64 v[23:24], 2, v[23:24]
	v_add_co_ci_u32_e32 v5, vcc_lo, v49, v6, vcc_lo
	v_mov_b32_e32 v6, v20
	v_mov_b32_e32 v20, v22
	;; [unrolled: 1-line block ×4, first 2 shown]
	v_add_co_u32 v23, vcc_lo, v48, v23
	s_waitcnt lgkmcnt(6)
	v_mad_u64_u32 v[37:38], null, s3, v39, v[6:7]
	v_mov_b32_e32 v6, v34
	v_mov_b32_e32 v22, v36
	v_mad_u64_u32 v[38:39], null, s3, v40, v[20:21]
	v_lshlrev_b64 v[25:26], 2, v[25:26]
	v_mad_u64_u32 v[39:40], null, s3, v41, v[6:7]
	v_mad_u64_u32 v[40:41], null, s3, v56, v[22:23]
	v_lshlrev_b64 v[27:28], 2, v[27:28]
	v_mov_b32_e32 v20, v37
	v_mov_b32_e32 v22, v38
	v_add_co_ci_u32_e32 v24, vcc_lo, v49, v24, vcc_lo
	v_mov_b32_e32 v34, v39
	v_mov_b32_e32 v36, v40
	v_lshlrev_b64 v[29:30], 2, v[29:30]
	v_add_co_u32 v25, vcc_lo, v48, v25
	v_add_co_ci_u32_e32 v26, vcc_lo, v49, v26, vcc_lo
	v_lshlrev_b64 v[31:32], 2, v[31:32]
	v_add_co_u32 v27, vcc_lo, v48, v27
	v_add_co_ci_u32_e32 v28, vcc_lo, v49, v28, vcc_lo
	v_add_co_u32 v29, vcc_lo, v48, v29
	v_lshlrev_b64 v[19:20], 2, v[19:20]
	v_add_co_ci_u32_e32 v30, vcc_lo, v49, v30, vcc_lo
	v_add_co_u32 v31, vcc_lo, v48, v31
	v_lshlrev_b64 v[21:22], 2, v[21:22]
	v_add_co_ci_u32_e32 v32, vcc_lo, v49, v32, vcc_lo
	v_lshlrev_b64 v[33:34], 2, v[33:34]
	v_add_co_u32 v19, vcc_lo, v48, v19
	v_add_co_ci_u32_e32 v20, vcc_lo, v49, v20, vcc_lo
	v_lshlrev_b64 v[35:36], 2, v[35:36]
	v_add_co_u32 v21, vcc_lo, v48, v21
	v_add_co_ci_u32_e32 v22, vcc_lo, v49, v22, vcc_lo
	v_add_co_u32 v33, vcc_lo, v48, v33
	v_add_co_ci_u32_e32 v34, vcc_lo, v49, v34, vcc_lo
	;; [unrolled: 2-line block ×3, first 2 shown]
	s_waitcnt vmcnt(5)
	v_pk_mul_f16 v6, v42, v7 op_sel:[0,1]
	s_waitcnt vmcnt(4)
	v_pk_mul_f16 v37, v43, v8 op_sel:[0,1]
	;; [unrolled: 2-line block ×5, first 2 shown]
	v_pk_fma_f16 v41, v42, v7, v6 op_sel:[0,0,1] op_sel_hi:[1,1,0] neg_lo:[0,0,1] neg_hi:[0,0,1]
	v_pk_fma_f16 v6, v42, v7, v6 op_sel:[0,0,1] op_sel_hi:[1,0,0]
	v_pk_fma_f16 v7, v43, v8, v37 op_sel:[0,0,1] op_sel_hi:[1,1,0] neg_lo:[0,0,1] neg_hi:[0,0,1]
	v_pk_fma_f16 v8, v43, v8, v37 op_sel:[0,0,1] op_sel_hi:[1,0,0]
	;; [unrolled: 2-line block ×5, first 2 shown]
	s_waitcnt vmcnt(0)
	v_pk_mul_f16 v40, v47, v12 op_sel:[0,1]
	v_bfi_b32 v6, 0xffff, v41, v6
	v_bfi_b32 v7, 0xffff, v7, v8
	;; [unrolled: 1-line block ×5, first 2 shown]
	v_pk_fma_f16 v16, v12, v47, v40 op_sel:[0,0,1] op_sel_hi:[1,1,0] neg_lo:[0,0,1] neg_hi:[0,0,1]
	v_pk_fma_f16 v12, v12, v47, v40 op_sel:[0,0,1] op_sel_hi:[0,1,0]
	v_pk_add_f16 v6, v17, v6 neg_lo:[0,1] neg_hi:[0,1]
	v_pk_add_f16 v8, v13, v8 neg_lo:[0,1] neg_hi:[0,1]
	;; [unrolled: 1-line block ×4, first 2 shown]
	v_bfi_b32 v11, 0xffff, v16, v12
	v_pk_add_f16 v7, v18, v7 neg_lo:[0,1] neg_hi:[0,1]
	s_waitcnt lgkmcnt(0)
	v_pk_fma_f16 v12, v55, 2.0, v6 op_sel_hi:[1,0,1] neg_lo:[0,0,1] neg_hi:[0,0,1]
	v_pk_fma_f16 v17, v51, 2.0, v9 op_sel_hi:[1,0,1] neg_lo:[0,0,1] neg_hi:[0,0,1]
	;; [unrolled: 1-line block ×3, first 2 shown]
	v_pk_add_f16 v10, v10, v11 neg_lo:[0,1] neg_hi:[0,1]
	v_pk_fma_f16 v14, v54, 2.0, v7 op_sel_hi:[1,0,1] neg_lo:[0,0,1] neg_hi:[0,0,1]
	v_pk_fma_f16 v15, v53, 2.0, v8 op_sel_hi:[1,0,1] neg_lo:[0,0,1] neg_hi:[0,0,1]
	global_store_dword v[2:3], v12, off
	global_store_dword v[23:24], v6, off
	;; [unrolled: 1-line block ×6, first 2 shown]
	v_pk_fma_f16 v0, v50, 2.0, v10 op_sel_hi:[1,0,1] neg_lo:[0,0,1] neg_hi:[0,0,1]
	global_store_dword v[29:30], v16, off
	global_store_dword v[31:32], v13, off
	;; [unrolled: 1-line block ×6, first 2 shown]
.LBB0_15:
	s_endpgm
	.section	.rodata,"a",@progbits
	.p2align	6, 0x0
	.amdhsa_kernel fft_rtc_fwd_len624_factors_13_4_6_2_wgs_52_tpt_52_half_ip_CI_sbrr_dirReg
		.amdhsa_group_segment_fixed_size 0
		.amdhsa_private_segment_fixed_size 0
		.amdhsa_kernarg_size 88
		.amdhsa_user_sgpr_count 6
		.amdhsa_user_sgpr_private_segment_buffer 1
		.amdhsa_user_sgpr_dispatch_ptr 0
		.amdhsa_user_sgpr_queue_ptr 0
		.amdhsa_user_sgpr_kernarg_segment_ptr 1
		.amdhsa_user_sgpr_dispatch_id 0
		.amdhsa_user_sgpr_flat_scratch_init 0
		.amdhsa_user_sgpr_private_segment_size 0
		.amdhsa_wavefront_size32 1
		.amdhsa_uses_dynamic_stack 0
		.amdhsa_system_sgpr_private_segment_wavefront_offset 0
		.amdhsa_system_sgpr_workgroup_id_x 1
		.amdhsa_system_sgpr_workgroup_id_y 0
		.amdhsa_system_sgpr_workgroup_id_z 0
		.amdhsa_system_sgpr_workgroup_info 0
		.amdhsa_system_vgpr_workitem_id 0
		.amdhsa_next_free_vgpr 124
		.amdhsa_next_free_sgpr 23
		.amdhsa_reserve_vcc 1
		.amdhsa_reserve_flat_scratch 0
		.amdhsa_float_round_mode_32 0
		.amdhsa_float_round_mode_16_64 0
		.amdhsa_float_denorm_mode_32 3
		.amdhsa_float_denorm_mode_16_64 3
		.amdhsa_dx10_clamp 1
		.amdhsa_ieee_mode 1
		.amdhsa_fp16_overflow 0
		.amdhsa_workgroup_processor_mode 1
		.amdhsa_memory_ordered 1
		.amdhsa_forward_progress 0
		.amdhsa_shared_vgpr_count 0
		.amdhsa_exception_fp_ieee_invalid_op 0
		.amdhsa_exception_fp_denorm_src 0
		.amdhsa_exception_fp_ieee_div_zero 0
		.amdhsa_exception_fp_ieee_overflow 0
		.amdhsa_exception_fp_ieee_underflow 0
		.amdhsa_exception_fp_ieee_inexact 0
		.amdhsa_exception_int_div_zero 0
	.end_amdhsa_kernel
	.text
.Lfunc_end0:
	.size	fft_rtc_fwd_len624_factors_13_4_6_2_wgs_52_tpt_52_half_ip_CI_sbrr_dirReg, .Lfunc_end0-fft_rtc_fwd_len624_factors_13_4_6_2_wgs_52_tpt_52_half_ip_CI_sbrr_dirReg
                                        ; -- End function
	.section	.AMDGPU.csdata,"",@progbits
; Kernel info:
; codeLenInByte = 8620
; NumSgprs: 25
; NumVgprs: 124
; ScratchSize: 0
; MemoryBound: 0
; FloatMode: 240
; IeeeMode: 1
; LDSByteSize: 0 bytes/workgroup (compile time only)
; SGPRBlocks: 3
; VGPRBlocks: 15
; NumSGPRsForWavesPerEU: 25
; NumVGPRsForWavesPerEU: 124
; Occupancy: 8
; WaveLimiterHint : 1
; COMPUTE_PGM_RSRC2:SCRATCH_EN: 0
; COMPUTE_PGM_RSRC2:USER_SGPR: 6
; COMPUTE_PGM_RSRC2:TRAP_HANDLER: 0
; COMPUTE_PGM_RSRC2:TGID_X_EN: 1
; COMPUTE_PGM_RSRC2:TGID_Y_EN: 0
; COMPUTE_PGM_RSRC2:TGID_Z_EN: 0
; COMPUTE_PGM_RSRC2:TIDIG_COMP_CNT: 0
	.text
	.p2alignl 6, 3214868480
	.fill 48, 4, 3214868480
	.type	__hip_cuid_786afc5e77ad7b5e,@object ; @__hip_cuid_786afc5e77ad7b5e
	.section	.bss,"aw",@nobits
	.globl	__hip_cuid_786afc5e77ad7b5e
__hip_cuid_786afc5e77ad7b5e:
	.byte	0                               ; 0x0
	.size	__hip_cuid_786afc5e77ad7b5e, 1

	.ident	"AMD clang version 19.0.0git (https://github.com/RadeonOpenCompute/llvm-project roc-6.4.0 25133 c7fe45cf4b819c5991fe208aaa96edf142730f1d)"
	.section	".note.GNU-stack","",@progbits
	.addrsig
	.addrsig_sym __hip_cuid_786afc5e77ad7b5e
	.amdgpu_metadata
---
amdhsa.kernels:
  - .args:
      - .actual_access:  read_only
        .address_space:  global
        .offset:         0
        .size:           8
        .value_kind:     global_buffer
      - .offset:         8
        .size:           8
        .value_kind:     by_value
      - .actual_access:  read_only
        .address_space:  global
        .offset:         16
        .size:           8
        .value_kind:     global_buffer
      - .actual_access:  read_only
        .address_space:  global
        .offset:         24
        .size:           8
        .value_kind:     global_buffer
      - .offset:         32
        .size:           8
        .value_kind:     by_value
      - .actual_access:  read_only
        .address_space:  global
        .offset:         40
        .size:           8
        .value_kind:     global_buffer
      - .actual_access:  read_only
        .address_space:  global
        .offset:         48
        .size:           8
        .value_kind:     global_buffer
      - .offset:         56
        .size:           4
        .value_kind:     by_value
      - .actual_access:  read_only
        .address_space:  global
        .offset:         64
        .size:           8
        .value_kind:     global_buffer
      - .actual_access:  read_only
        .address_space:  global
        .offset:         72
        .size:           8
        .value_kind:     global_buffer
      - .address_space:  global
        .offset:         80
        .size:           8
        .value_kind:     global_buffer
    .group_segment_fixed_size: 0
    .kernarg_segment_align: 8
    .kernarg_segment_size: 88
    .language:       OpenCL C
    .language_version:
      - 2
      - 0
    .max_flat_workgroup_size: 52
    .name:           fft_rtc_fwd_len624_factors_13_4_6_2_wgs_52_tpt_52_half_ip_CI_sbrr_dirReg
    .private_segment_fixed_size: 0
    .sgpr_count:     25
    .sgpr_spill_count: 0
    .symbol:         fft_rtc_fwd_len624_factors_13_4_6_2_wgs_52_tpt_52_half_ip_CI_sbrr_dirReg.kd
    .uniform_work_group_size: 1
    .uses_dynamic_stack: false
    .vgpr_count:     124
    .vgpr_spill_count: 0
    .wavefront_size: 32
    .workgroup_processor_mode: 1
amdhsa.target:   amdgcn-amd-amdhsa--gfx1030
amdhsa.version:
  - 1
  - 2
...

	.end_amdgpu_metadata
